;; amdgpu-corpus repo=ROCm/rocFFT kind=compiled arch=gfx1201 opt=O3
	.text
	.amdgcn_target "amdgcn-amd-amdhsa--gfx1201"
	.amdhsa_code_object_version 6
	.protected	fft_rtc_fwd_len1225_factors_5_5_7_7_wgs_175_tpt_175_halfLds_half_op_CI_CI_unitstride_sbrr_dirReg ; -- Begin function fft_rtc_fwd_len1225_factors_5_5_7_7_wgs_175_tpt_175_halfLds_half_op_CI_CI_unitstride_sbrr_dirReg
	.globl	fft_rtc_fwd_len1225_factors_5_5_7_7_wgs_175_tpt_175_halfLds_half_op_CI_CI_unitstride_sbrr_dirReg
	.p2align	8
	.type	fft_rtc_fwd_len1225_factors_5_5_7_7_wgs_175_tpt_175_halfLds_half_op_CI_CI_unitstride_sbrr_dirReg,@function
fft_rtc_fwd_len1225_factors_5_5_7_7_wgs_175_tpt_175_halfLds_half_op_CI_CI_unitstride_sbrr_dirReg: ; @fft_rtc_fwd_len1225_factors_5_5_7_7_wgs_175_tpt_175_halfLds_half_op_CI_CI_unitstride_sbrr_dirReg
; %bb.0:
	s_clause 0x2
	s_load_b128 s[8:11], s[0:1], 0x0
	s_load_b128 s[4:7], s[0:1], 0x58
	;; [unrolled: 1-line block ×3, first 2 shown]
	v_mul_u32_u24_e32 v1, 0x177, v0
	v_mov_b32_e32 v8, 0
	v_mov_b32_e32 v6, 0
	;; [unrolled: 1-line block ×3, first 2 shown]
	s_delay_alu instid0(VALU_DEP_4) | instskip(NEXT) | instid1(VALU_DEP_1)
	v_lshrrev_b32_e32 v1, 16, v1
	v_dual_mov_b32 v11, v8 :: v_dual_add_nc_u32 v10, ttmp9, v1
	s_wait_kmcnt 0x0
	v_cmp_lt_u64_e64 s2, s[10:11], 2
	s_delay_alu instid0(VALU_DEP_1)
	s_and_b32 vcc_lo, exec_lo, s2
	s_cbranch_vccnz .LBB0_8
; %bb.1:
	s_load_b64 s[2:3], s[0:1], 0x10
	v_mov_b32_e32 v6, 0
	v_mov_b32_e32 v7, 0
	s_delay_alu instid0(VALU_DEP_2)
	v_mov_b32_e32 v1, v6
	s_add_nc_u64 s[16:17], s[14:15], 8
	s_add_nc_u64 s[18:19], s[12:13], 8
	s_mov_b64 s[20:21], 1
	v_mov_b32_e32 v2, v7
	s_wait_kmcnt 0x0
	s_add_nc_u64 s[22:23], s[2:3], 8
	s_mov_b32 s3, 0
.LBB0_2:                                ; =>This Inner Loop Header: Depth=1
	s_load_b64 s[24:25], s[22:23], 0x0
                                        ; implicit-def: $vgpr3_vgpr4
	s_mov_b32 s2, exec_lo
	s_wait_kmcnt 0x0
	v_or_b32_e32 v9, s25, v11
	s_delay_alu instid0(VALU_DEP_1)
	v_cmpx_ne_u64_e32 0, v[8:9]
	s_wait_alu 0xfffe
	s_xor_b32 s26, exec_lo, s2
	s_cbranch_execz .LBB0_4
; %bb.3:                                ;   in Loop: Header=BB0_2 Depth=1
	s_cvt_f32_u32 s2, s24
	s_cvt_f32_u32 s27, s25
	s_sub_nc_u64 s[30:31], 0, s[24:25]
	s_wait_alu 0xfffe
	s_delay_alu instid0(SALU_CYCLE_1) | instskip(SKIP_1) | instid1(SALU_CYCLE_2)
	s_fmamk_f32 s2, s27, 0x4f800000, s2
	s_wait_alu 0xfffe
	v_s_rcp_f32 s2, s2
	s_delay_alu instid0(TRANS32_DEP_1) | instskip(SKIP_1) | instid1(SALU_CYCLE_2)
	s_mul_f32 s2, s2, 0x5f7ffffc
	s_wait_alu 0xfffe
	s_mul_f32 s27, s2, 0x2f800000
	s_wait_alu 0xfffe
	s_delay_alu instid0(SALU_CYCLE_2) | instskip(SKIP_1) | instid1(SALU_CYCLE_2)
	s_trunc_f32 s27, s27
	s_wait_alu 0xfffe
	s_fmamk_f32 s2, s27, 0xcf800000, s2
	s_cvt_u32_f32 s29, s27
	s_wait_alu 0xfffe
	s_delay_alu instid0(SALU_CYCLE_1) | instskip(SKIP_1) | instid1(SALU_CYCLE_2)
	s_cvt_u32_f32 s28, s2
	s_wait_alu 0xfffe
	s_mul_u64 s[34:35], s[30:31], s[28:29]
	s_wait_alu 0xfffe
	s_mul_hi_u32 s37, s28, s35
	s_mul_i32 s36, s28, s35
	s_mul_hi_u32 s2, s28, s34
	s_mul_i32 s33, s29, s34
	s_wait_alu 0xfffe
	s_add_nc_u64 s[36:37], s[2:3], s[36:37]
	s_mul_hi_u32 s27, s29, s34
	s_mul_hi_u32 s38, s29, s35
	s_add_co_u32 s2, s36, s33
	s_wait_alu 0xfffe
	s_add_co_ci_u32 s2, s37, s27
	s_mul_i32 s34, s29, s35
	s_add_co_ci_u32 s35, s38, 0
	s_wait_alu 0xfffe
	s_add_nc_u64 s[34:35], s[2:3], s[34:35]
	s_wait_alu 0xfffe
	v_add_co_u32 v3, s2, s28, s34
	s_delay_alu instid0(VALU_DEP_1) | instskip(SKIP_1) | instid1(VALU_DEP_1)
	s_cmp_lg_u32 s2, 0
	s_add_co_ci_u32 s29, s29, s35
	v_readfirstlane_b32 s28, v3
	s_wait_alu 0xfffe
	s_delay_alu instid0(VALU_DEP_1)
	s_mul_u64 s[30:31], s[30:31], s[28:29]
	s_wait_alu 0xfffe
	s_mul_hi_u32 s35, s28, s31
	s_mul_i32 s34, s28, s31
	s_mul_hi_u32 s2, s28, s30
	s_mul_i32 s33, s29, s30
	s_wait_alu 0xfffe
	s_add_nc_u64 s[34:35], s[2:3], s[34:35]
	s_mul_hi_u32 s27, s29, s30
	s_mul_hi_u32 s28, s29, s31
	s_wait_alu 0xfffe
	s_add_co_u32 s2, s34, s33
	s_add_co_ci_u32 s2, s35, s27
	s_mul_i32 s30, s29, s31
	s_add_co_ci_u32 s31, s28, 0
	s_wait_alu 0xfffe
	s_add_nc_u64 s[30:31], s[2:3], s[30:31]
	s_wait_alu 0xfffe
	v_add_co_u32 v5, s2, v3, s30
	s_delay_alu instid0(VALU_DEP_1) | instskip(SKIP_1) | instid1(VALU_DEP_1)
	s_cmp_lg_u32 s2, 0
	s_add_co_ci_u32 s2, s29, s31
	v_mul_hi_u32 v9, v10, v5
	s_wait_alu 0xfffe
	v_mad_co_u64_u32 v[3:4], null, v10, s2, 0
	v_mad_co_u64_u32 v[12:13], null, v11, v5, 0
	;; [unrolled: 1-line block ×3, first 2 shown]
	s_delay_alu instid0(VALU_DEP_3) | instskip(SKIP_1) | instid1(VALU_DEP_4)
	v_add_co_u32 v3, vcc_lo, v9, v3
	s_wait_alu 0xfffd
	v_add_co_ci_u32_e32 v4, vcc_lo, 0, v4, vcc_lo
	s_delay_alu instid0(VALU_DEP_2) | instskip(SKIP_1) | instid1(VALU_DEP_2)
	v_add_co_u32 v3, vcc_lo, v3, v12
	s_wait_alu 0xfffd
	v_add_co_ci_u32_e32 v3, vcc_lo, v4, v13, vcc_lo
	s_wait_alu 0xfffd
	v_add_co_ci_u32_e32 v4, vcc_lo, 0, v15, vcc_lo
	s_delay_alu instid0(VALU_DEP_2) | instskip(SKIP_1) | instid1(VALU_DEP_2)
	v_add_co_u32 v5, vcc_lo, v3, v14
	s_wait_alu 0xfffd
	v_add_co_ci_u32_e32 v9, vcc_lo, 0, v4, vcc_lo
	s_delay_alu instid0(VALU_DEP_2) | instskip(SKIP_1) | instid1(VALU_DEP_3)
	v_mul_lo_u32 v12, s25, v5
	v_mad_co_u64_u32 v[3:4], null, s24, v5, 0
	v_mul_lo_u32 v13, s24, v9
	s_delay_alu instid0(VALU_DEP_2) | instskip(NEXT) | instid1(VALU_DEP_2)
	v_sub_co_u32 v3, vcc_lo, v10, v3
	v_add3_u32 v4, v4, v13, v12
	s_delay_alu instid0(VALU_DEP_1) | instskip(SKIP_1) | instid1(VALU_DEP_1)
	v_sub_nc_u32_e32 v12, v11, v4
	s_wait_alu 0xfffd
	v_subrev_co_ci_u32_e64 v12, s2, s25, v12, vcc_lo
	v_add_co_u32 v13, s2, v5, 2
	s_wait_alu 0xf1ff
	v_add_co_ci_u32_e64 v14, s2, 0, v9, s2
	v_sub_co_u32 v15, s2, v3, s24
	v_sub_co_ci_u32_e32 v4, vcc_lo, v11, v4, vcc_lo
	s_wait_alu 0xf1ff
	v_subrev_co_ci_u32_e64 v12, s2, 0, v12, s2
	s_delay_alu instid0(VALU_DEP_3) | instskip(NEXT) | instid1(VALU_DEP_3)
	v_cmp_le_u32_e32 vcc_lo, s24, v15
	v_cmp_eq_u32_e64 s2, s25, v4
	s_wait_alu 0xfffd
	v_cndmask_b32_e64 v15, 0, -1, vcc_lo
	v_cmp_le_u32_e32 vcc_lo, s25, v12
	s_wait_alu 0xfffd
	v_cndmask_b32_e64 v16, 0, -1, vcc_lo
	v_cmp_le_u32_e32 vcc_lo, s24, v3
	;; [unrolled: 3-line block ×3, first 2 shown]
	s_wait_alu 0xfffd
	v_cndmask_b32_e64 v17, 0, -1, vcc_lo
	v_cmp_eq_u32_e32 vcc_lo, s25, v12
	s_wait_alu 0xf1ff
	s_delay_alu instid0(VALU_DEP_2)
	v_cndmask_b32_e64 v3, v17, v3, s2
	s_wait_alu 0xfffd
	v_cndmask_b32_e32 v12, v16, v15, vcc_lo
	v_add_co_u32 v15, vcc_lo, v5, 1
	s_wait_alu 0xfffd
	v_add_co_ci_u32_e32 v16, vcc_lo, 0, v9, vcc_lo
	s_delay_alu instid0(VALU_DEP_3) | instskip(SKIP_2) | instid1(VALU_DEP_3)
	v_cmp_ne_u32_e32 vcc_lo, 0, v12
	s_wait_alu 0xfffd
	v_cndmask_b32_e32 v12, v15, v13, vcc_lo
	v_cndmask_b32_e32 v4, v16, v14, vcc_lo
	v_cmp_ne_u32_e32 vcc_lo, 0, v3
	s_wait_alu 0xfffd
	s_delay_alu instid0(VALU_DEP_3) | instskip(NEXT) | instid1(VALU_DEP_3)
	v_cndmask_b32_e32 v3, v5, v12, vcc_lo
	v_cndmask_b32_e32 v4, v9, v4, vcc_lo
.LBB0_4:                                ;   in Loop: Header=BB0_2 Depth=1
	s_wait_alu 0xfffe
	s_and_not1_saveexec_b32 s2, s26
	s_cbranch_execz .LBB0_6
; %bb.5:                                ;   in Loop: Header=BB0_2 Depth=1
	v_cvt_f32_u32_e32 v3, s24
	s_sub_co_i32 s26, 0, s24
	s_delay_alu instid0(VALU_DEP_1) | instskip(NEXT) | instid1(TRANS32_DEP_1)
	v_rcp_iflag_f32_e32 v3, v3
	v_mul_f32_e32 v3, 0x4f7ffffe, v3
	s_delay_alu instid0(VALU_DEP_1) | instskip(SKIP_1) | instid1(VALU_DEP_1)
	v_cvt_u32_f32_e32 v3, v3
	s_wait_alu 0xfffe
	v_mul_lo_u32 v4, s26, v3
	s_delay_alu instid0(VALU_DEP_1) | instskip(NEXT) | instid1(VALU_DEP_1)
	v_mul_hi_u32 v4, v3, v4
	v_add_nc_u32_e32 v3, v3, v4
	s_delay_alu instid0(VALU_DEP_1) | instskip(NEXT) | instid1(VALU_DEP_1)
	v_mul_hi_u32 v3, v10, v3
	v_mul_lo_u32 v4, v3, s24
	v_add_nc_u32_e32 v5, 1, v3
	s_delay_alu instid0(VALU_DEP_2) | instskip(NEXT) | instid1(VALU_DEP_1)
	v_sub_nc_u32_e32 v4, v10, v4
	v_subrev_nc_u32_e32 v9, s24, v4
	v_cmp_le_u32_e32 vcc_lo, s24, v4
	s_wait_alu 0xfffd
	s_delay_alu instid0(VALU_DEP_2) | instskip(SKIP_1) | instid1(VALU_DEP_2)
	v_cndmask_b32_e32 v4, v4, v9, vcc_lo
	v_cndmask_b32_e32 v3, v3, v5, vcc_lo
	v_cmp_le_u32_e32 vcc_lo, s24, v4
	s_delay_alu instid0(VALU_DEP_2) | instskip(SKIP_1) | instid1(VALU_DEP_1)
	v_dual_mov_b32 v4, v8 :: v_dual_add_nc_u32 v5, 1, v3
	s_wait_alu 0xfffd
	v_cndmask_b32_e32 v3, v3, v5, vcc_lo
.LBB0_6:                                ;   in Loop: Header=BB0_2 Depth=1
	s_wait_alu 0xfffe
	s_or_b32 exec_lo, exec_lo, s2
	v_mul_lo_u32 v5, v4, s24
	s_delay_alu instid0(VALU_DEP_2)
	v_mul_lo_u32 v9, v3, s25
	s_load_b64 s[26:27], s[18:19], 0x0
	v_mad_co_u64_u32 v[12:13], null, v3, s24, 0
	s_load_b64 s[24:25], s[16:17], 0x0
	s_add_nc_u64 s[20:21], s[20:21], 1
	s_add_nc_u64 s[16:17], s[16:17], 8
	s_wait_alu 0xfffe
	v_cmp_ge_u64_e64 s2, s[20:21], s[10:11]
	s_add_nc_u64 s[18:19], s[18:19], 8
	s_add_nc_u64 s[22:23], s[22:23], 8
	v_add3_u32 v5, v13, v9, v5
	v_sub_co_u32 v9, vcc_lo, v10, v12
	s_wait_alu 0xfffd
	s_delay_alu instid0(VALU_DEP_2) | instskip(SKIP_2) | instid1(VALU_DEP_1)
	v_sub_co_ci_u32_e32 v5, vcc_lo, v11, v5, vcc_lo
	s_and_b32 vcc_lo, exec_lo, s2
	s_wait_kmcnt 0x0
	v_mul_lo_u32 v10, s26, v5
	v_mul_lo_u32 v11, s27, v9
	v_mad_co_u64_u32 v[6:7], null, s26, v9, v[6:7]
	v_mul_lo_u32 v5, s24, v5
	v_mul_lo_u32 v12, s25, v9
	v_mad_co_u64_u32 v[1:2], null, s24, v9, v[1:2]
	s_delay_alu instid0(VALU_DEP_4) | instskip(NEXT) | instid1(VALU_DEP_2)
	v_add3_u32 v7, v11, v7, v10
	v_add3_u32 v2, v12, v2, v5
	s_wait_alu 0xfffe
	s_cbranch_vccnz .LBB0_9
; %bb.7:                                ;   in Loop: Header=BB0_2 Depth=1
	v_dual_mov_b32 v11, v4 :: v_dual_mov_b32 v10, v3
	s_branch .LBB0_2
.LBB0_8:
	v_dual_mov_b32 v1, v6 :: v_dual_mov_b32 v2, v7
	v_dual_mov_b32 v3, v10 :: v_dual_mov_b32 v4, v11
.LBB0_9:
	s_load_b64 s[0:1], s[0:1], 0x28
	v_mul_hi_u32 v11, 0x1767dcf, v0
	s_lshl_b64 s[10:11], s[10:11], 3
                                        ; implicit-def: $vgpr8
	s_wait_alu 0xfffe
	s_add_nc_u64 s[2:3], s[14:15], s[10:11]
                                        ; implicit-def: $sgpr14
	s_wait_kmcnt 0x0
	v_cmp_gt_u64_e32 vcc_lo, s[0:1], v[3:4]
	v_cmp_le_u64_e64 s0, s[0:1], v[3:4]
	s_delay_alu instid0(VALU_DEP_1)
	s_and_saveexec_b32 s1, s0
	s_wait_alu 0xfffe
	s_xor_b32 s0, exec_lo, s1
; %bb.10:
	v_mul_u32_u24_e32 v5, 0xaf, v11
	s_mov_b32 s14, 0
                                        ; implicit-def: $vgpr11
                                        ; implicit-def: $vgpr6_vgpr7
	s_delay_alu instid0(VALU_DEP_1)
	v_sub_nc_u32_e32 v8, v0, v5
                                        ; implicit-def: $vgpr0
; %bb.11:
	s_wait_alu 0xfffe
	s_or_saveexec_b32 s1, s0
	s_load_b64 s[2:3], s[2:3], 0x0
	v_mov_b32_e32 v5, s14
                                        ; implicit-def: $vgpr20
                                        ; implicit-def: $vgpr15
                                        ; implicit-def: $vgpr32
                                        ; implicit-def: $vgpr28
                                        ; implicit-def: $vgpr33
                                        ; implicit-def: $vgpr29
                                        ; implicit-def: $vgpr34
                                        ; implicit-def: $vgpr30
                                        ; implicit-def: $vgpr13
                                        ; implicit-def: $vgpr27
                                        ; implicit-def: $vgpr17
                                        ; implicit-def: $vgpr21
                                        ; implicit-def: $vgpr18
                                        ; implicit-def: $vgpr19
                                        ; implicit-def: $vgpr16
                                        ; implicit-def: $vgpr22
                                        ; implicit-def: $vgpr10
                                        ; implicit-def: $vgpr9
                                        ; implicit-def: $vgpr35
                                        ; implicit-def: $vgpr31
	s_xor_b32 exec_lo, exec_lo, s1
	s_cbranch_execz .LBB0_15
; %bb.12:
	s_add_nc_u64 s[10:11], s[12:13], s[10:11]
	v_mul_u32_u24_e32 v11, 0xaf, v11
	s_load_b64 s[10:11], s[10:11], 0x0
                                        ; implicit-def: $vgpr22
                                        ; implicit-def: $vgpr16
                                        ; implicit-def: $vgpr19
                                        ; implicit-def: $vgpr18
                                        ; implicit-def: $vgpr21
                                        ; implicit-def: $vgpr17
                                        ; implicit-def: $vgpr27
                                        ; implicit-def: $vgpr13
	s_wait_kmcnt 0x0
	v_mul_lo_u32 v5, s11, v3
	v_mul_lo_u32 v10, s10, v4
	v_mad_co_u64_u32 v[8:9], null, s10, v3, 0
	s_delay_alu instid0(VALU_DEP_1) | instskip(SKIP_1) | instid1(VALU_DEP_2)
	v_add3_u32 v9, v9, v10, v5
	v_lshlrev_b64_e32 v[5:6], 2, v[6:7]
	v_lshlrev_b64_e32 v[9:10], 2, v[8:9]
	v_sub_nc_u32_e32 v8, v0, v11
	s_delay_alu instid0(VALU_DEP_2) | instskip(SKIP_1) | instid1(VALU_DEP_3)
	v_add_co_u32 v0, s0, s4, v9
	s_wait_alu 0xf1ff
	v_add_co_ci_u32_e64 v7, s0, s5, v10, s0
	s_delay_alu instid0(VALU_DEP_3) | instskip(NEXT) | instid1(VALU_DEP_3)
	v_lshlrev_b32_e32 v9, 2, v8
	v_add_co_u32 v0, s0, v0, v5
	s_wait_alu 0xf1ff
	s_delay_alu instid0(VALU_DEP_3) | instskip(SKIP_1) | instid1(VALU_DEP_2)
	v_add_co_ci_u32_e64 v6, s0, v7, v6, s0
	s_mov_b32 s4, exec_lo
	v_add_co_u32 v5, s0, v0, v9
	s_wait_alu 0xf1ff
	s_delay_alu instid0(VALU_DEP_2)
	v_add_co_ci_u32_e64 v6, s0, 0, v6, s0
                                        ; implicit-def: $vgpr9
                                        ; implicit-def: $vgpr10
	s_clause 0x4
	global_load_b32 v15, v[5:6], off
	global_load_b32 v28, v[5:6], off offset:980
	global_load_b32 v29, v[5:6], off offset:1960
	;; [unrolled: 1-line block ×4, first 2 shown]
	v_cmpx_gt_u32_e32 0x46, v8
	s_cbranch_execz .LBB0_14
; %bb.13:
	s_clause 0x4
	global_load_b32 v9, v[5:6], off offset:700
	global_load_b32 v22, v[5:6], off offset:1680
	;; [unrolled: 1-line block ×5, first 2 shown]
	s_wait_loadcnt 0x4
	v_lshrrev_b32_e32 v10, 16, v9
	s_wait_loadcnt 0x3
	v_lshrrev_b32_e32 v16, 16, v22
	;; [unrolled: 2-line block ×5, first 2 shown]
.LBB0_14:
	s_wait_alu 0xfffe
	s_or_b32 exec_lo, exec_lo, s4
	s_wait_loadcnt 0x4
	v_lshrrev_b32_e32 v20, 16, v15
	s_wait_loadcnt 0x3
	v_lshrrev_b32_e32 v32, 16, v28
	;; [unrolled: 2-line block ×5, first 2 shown]
	v_mov_b32_e32 v5, v8
.LBB0_15:
	s_or_b32 exec_lo, exec_lo, s1
	v_add_f16_e32 v0, v31, v29
	v_add_f16_e32 v6, v15, v28
	v_sub_f16_e32 v7, v32, v34
	v_sub_f16_e32 v11, v33, v35
	;; [unrolled: 1-line block ×3, first 2 shown]
	v_fma_f16 v0, -0.5, v0, v15
	v_sub_f16_e32 v14, v30, v31
	v_add_f16_e32 v23, v28, v30
	v_add_f16_e32 v6, v6, v29
	;; [unrolled: 1-line block ×3, first 2 shown]
	v_fmamk_f16 v25, v7, 0x3b9c, v0
	v_fmac_f16_e32 v0, 0xbb9c, v7
	v_add_f16_e32 v12, v12, v14
	v_fmac_f16_e32 v15, -0.5, v23
	v_add_f16_e32 v6, v6, v31
	v_fmac_f16_e32 v25, 0x38b4, v11
	v_fmac_f16_e32 v0, 0xb8b4, v11
	v_add_f16_e32 v14, v21, v19
	v_fmamk_f16 v23, v11, 0xbb9c, v15
	v_add_f16_e32 v26, v6, v30
	v_fmac_f16_e32 v25, 0x34f2, v12
	v_fmac_f16_e32 v0, 0x34f2, v12
	v_sub_f16_e32 v6, v29, v28
	v_sub_f16_e32 v12, v31, v30
	v_fmac_f16_e32 v15, 0x3b9c, v11
	v_fma_f16 v11, -0.5, v14, v9
	v_add_f16_e32 v14, v27, v22
	v_sub_f16_e32 v36, v16, v13
	v_fmac_f16_e32 v23, 0x38b4, v7
	v_add_f16_e32 v6, v6, v12
	v_fmac_f16_e32 v15, 0xb8b4, v7
	v_add_f16_e32 v7, v19, v24
	v_sub_f16_e32 v24, v18, v17
	v_fmac_f16_e32 v9, -0.5, v14
	v_fmamk_f16 v12, v36, 0x3b9c, v11
	v_fmac_f16_e32 v23, 0x34f2, v6
	v_fmac_f16_e32 v15, 0x34f2, v6
	v_add_f16_e32 v6, v21, v7
	v_sub_f16_e32 v7, v22, v19
	v_sub_f16_e32 v37, v27, v21
	v_fmac_f16_e32 v11, 0xbb9c, v36
	v_fmamk_f16 v14, v24, 0xbb9c, v9
	v_sub_f16_e32 v38, v19, v22
	v_sub_f16_e32 v39, v21, v27
	v_fmac_f16_e32 v9, 0x3b9c, v24
	v_fmac_f16_e32 v12, 0x38b4, v24
	v_add_f16_e32 v7, v37, v7
	v_fmac_f16_e32 v11, 0xb8b4, v24
	v_fmac_f16_e32 v14, 0x38b4, v36
	v_add_f16_e32 v37, v39, v38
	v_fmac_f16_e32 v9, 0xb8b4, v36
	v_add_f16_e32 v6, v27, v6
	v_fmac_f16_e32 v12, 0x34f2, v7
	v_fmac_f16_e32 v11, 0x34f2, v7
	v_fmac_f16_e32 v14, 0x34f2, v37
	v_mad_u32_u24 v36, v8, 10, 0
	v_pack_b32_f16 v24, v23, v15
	v_pack_b32_f16 v23, v26, v25
	v_fmac_f16_e32 v9, 0x34f2, v37
	v_cmp_gt_u32_e64 s0, 0x46, v8
	ds_store_b64 v36, v[23:24]
	ds_store_b16 v36, v0 offset:8
	s_and_saveexec_b32 s1, s0
	s_cbranch_execz .LBB0_17
; %bb.16:
	v_perm_b32 v24, v9, v14, 0x5040100
	v_perm_b32 v23, v12, v6, 0x5040100
	ds_store_b64 v36, v[23:24] offset:1750
	ds_store_b16 v36, v11 offset:1758
.LBB0_17:
	s_wait_alu 0xfffe
	s_or_b32 exec_lo, exec_lo, s1
	v_lshlrev_b32_e32 v0, 3, v8
	global_wb scope:SCOPE_SE
	s_wait_dscnt 0x0
	s_wait_kmcnt 0x0
	s_barrier_signal -1
	s_barrier_wait -1
	global_inv scope:SCOPE_SE
	v_sub_nc_u32_e32 v7, v36, v0
	v_sub_nc_u32_e32 v0, 0, v0
	ds_load_u16 v15, v7
	ds_load_u16 v26, v7 offset:490
	ds_load_u16 v25, v7 offset:980
	;; [unrolled: 1-line block ×4, first 2 shown]
	v_add_nc_u32_e32 v0, v36, v0
	s_and_saveexec_b32 s1, s0
	s_cbranch_execz .LBB0_19
; %bb.18:
	ds_load_u16 v6, v0 offset:350
	ds_load_u16 v12, v0 offset:840
	;; [unrolled: 1-line block ×5, first 2 shown]
.LBB0_19:
	s_wait_alu 0xfffe
	s_or_b32 exec_lo, exec_lo, s1
	v_add_f16_e32 v7, v35, v33
	v_sub_f16_e32 v30, v28, v30
	v_sub_f16_e32 v28, v29, v31
	;; [unrolled: 1-line block ×3, first 2 shown]
	v_add_f16_e32 v37, v20, v32
	v_fma_f16 v29, -0.5, v7, v20
	v_sub_f16_e32 v7, v32, v33
	v_add_f16_e32 v38, v32, v34
	v_sub_f16_e32 v27, v22, v27
	v_add_f16_e32 v37, v37, v33
	v_fmamk_f16 v39, v30, 0xbb9c, v29
	v_fmac_f16_e32 v29, 0x3b9c, v30
	v_add_f16_e32 v7, v7, v31
	v_fmac_f16_e32 v20, -0.5, v38
	v_add_f16_e32 v31, v37, v35
	v_fmac_f16_e32 v39, 0xb8b4, v28
	v_fmac_f16_e32 v29, 0x38b4, v28
	v_add_f16_e32 v37, v17, v18
	v_fmamk_f16 v38, v28, 0x3b9c, v20
	v_fmac_f16_e32 v20, 0xbb9c, v28
	v_fmac_f16_e32 v39, 0x34f2, v7
	;; [unrolled: 1-line block ×3, first 2 shown]
	v_sub_f16_e32 v7, v33, v32
	v_sub_f16_e32 v32, v35, v34
	v_add_f16_e32 v33, v16, v10
	v_fma_f16 v28, -0.5, v37, v10
	v_fmac_f16_e32 v38, 0xb8b4, v30
	v_fmac_f16_e32 v20, 0x38b4, v30
	v_add_f16_e32 v7, v7, v32
	v_add_f16_e32 v32, v13, v16
	;; [unrolled: 1-line block ×3, first 2 shown]
	v_sub_f16_e32 v21, v19, v21
	v_fmamk_f16 v22, v27, 0xbb9c, v28
	v_fmac_f16_e32 v38, 0x34f2, v7
	v_fmac_f16_e32 v10, -0.5, v32
	v_fmac_f16_e32 v20, 0x34f2, v7
	v_add_f16_e32 v7, v17, v30
	v_sub_f16_e32 v30, v16, v18
	v_sub_f16_e32 v32, v13, v17
	v_fmac_f16_e32 v28, 0x3b9c, v27
	v_fmamk_f16 v19, v21, 0x3b9c, v10
	v_sub_f16_e32 v16, v18, v16
	v_sub_f16_e32 v17, v17, v13
	v_fmac_f16_e32 v10, 0xbb9c, v21
	v_add_f16_e32 v31, v31, v34
	v_fmac_f16_e32 v22, 0xb8b4, v21
	v_add_f16_e32 v18, v32, v30
	v_fmac_f16_e32 v28, 0x38b4, v21
	v_fmac_f16_e32 v19, 0xb8b4, v27
	v_add_f16_e32 v16, v17, v16
	v_fmac_f16_e32 v10, 0x38b4, v27
	v_add_f16_e32 v7, v13, v7
	v_fmac_f16_e32 v22, 0x34f2, v18
	v_fmac_f16_e32 v28, 0x34f2, v18
	;; [unrolled: 1-line block ×4, first 2 shown]
	v_pack_b32_f16 v17, v38, v20
	v_pack_b32_f16 v16, v31, v39
	global_wb scope:SCOPE_SE
	s_wait_dscnt 0x0
	s_barrier_signal -1
	s_barrier_wait -1
	global_inv scope:SCOPE_SE
	ds_store_b64 v36, v[16:17]
	ds_store_b16 v36, v29 offset:8
	s_and_saveexec_b32 s1, s0
	s_cbranch_execz .LBB0_21
; %bb.20:
	v_perm_b32 v17, v10, v19, 0x5040100
	v_perm_b32 v16, v22, v7, 0x5040100
	ds_store_b64 v36, v[16:17] offset:1750
	ds_store_b16 v36, v28 offset:1758
.LBB0_21:
	s_wait_alu 0xfffe
	s_or_b32 exec_lo, exec_lo, s1
	global_wb scope:SCOPE_SE
	s_wait_dscnt 0x0
	s_barrier_signal -1
	s_barrier_wait -1
	global_inv scope:SCOPE_SE
	ds_load_u16 v16, v0
	ds_load_u16 v34, v0 offset:490
	ds_load_u16 v30, v0 offset:980
	;; [unrolled: 1-line block ×4, first 2 shown]
	s_and_saveexec_b32 s1, s0
	s_cbranch_execz .LBB0_23
; %bb.22:
	ds_load_u16 v7, v0 offset:350
	ds_load_u16 v22, v0 offset:840
	;; [unrolled: 1-line block ×5, first 2 shown]
.LBB0_23:
	s_wait_alu 0xfffe
	s_or_b32 exec_lo, exec_lo, s1
	v_and_b32_e32 v13, 0xff, v8
	v_add_nc_u32_e32 v18, 0xaf, v8
	s_delay_alu instid0(VALU_DEP_2) | instskip(NEXT) | instid1(VALU_DEP_2)
	v_mul_lo_u16 v17, 0xcd, v13
	v_and_b32_e32 v27, 0xffff, v18
	s_delay_alu instid0(VALU_DEP_2) | instskip(NEXT) | instid1(VALU_DEP_2)
	v_lshrrev_b16 v17, 10, v17
	v_mul_u32_u24_e32 v27, 0xcccd, v27
	s_delay_alu instid0(VALU_DEP_2) | instskip(NEXT) | instid1(VALU_DEP_2)
	v_mul_lo_u16 v29, v17, 5
	v_lshrrev_b32_e32 v27, 18, v27
	v_and_b32_e32 v17, 0xffff, v17
	s_delay_alu instid0(VALU_DEP_3) | instskip(NEXT) | instid1(VALU_DEP_3)
	v_sub_nc_u16 v29, v8, v29
	v_mul_lo_u16 v27, v27, 5
	s_delay_alu instid0(VALU_DEP_3) | instskip(NEXT) | instid1(VALU_DEP_3)
	v_mul_u32_u24_e32 v17, 50, v17
	v_and_b32_e32 v29, 0xff, v29
	s_delay_alu instid0(VALU_DEP_3) | instskip(SKIP_1) | instid1(VALU_DEP_3)
	v_sub_nc_u16 v27, v18, v27
	v_and_b32_e32 v18, 0xff, v18
	v_lshlrev_b32_e32 v31, 4, v29
	global_load_b128 v[36:39], v31, s[8:9]
	v_and_b32_e32 v31, 0xffff, v27
	s_delay_alu instid0(VALU_DEP_1)
	v_lshlrev_b32_e32 v27, 4, v31
	global_load_b128 v[40:43], v27, s[8:9]
	v_lshlrev_b32_e32 v27, 1, v29
	global_wb scope:SCOPE_SE
	s_wait_loadcnt_dscnt 0x0
	s_barrier_signal -1
	s_barrier_wait -1
	global_inv scope:SCOPE_SE
	v_add3_u32 v27, 0, v17, v27
	v_lshlrev_b32_e32 v17, 1, v31
	v_lshrrev_b32_e32 v29, 16, v36
	v_lshrrev_b32_e32 v31, 16, v37
	;; [unrolled: 1-line block ×4, first 2 shown]
	s_delay_alu instid0(VALU_DEP_4)
	v_mul_f16_e32 v45, v34, v29
	v_mul_f16_e32 v32, v26, v29
	;; [unrolled: 1-line block ×6, first 2 shown]
	v_lshrrev_b32_e32 v50, 16, v42
	v_mul_f16_e32 v31, v24, v35
	v_lshrrev_b32_e32 v49, 16, v41
	v_mul_f16_e32 v29, v23, v44
	v_lshrrev_b32_e32 v44, 16, v40
	v_lshrrev_b32_e32 v51, 16, v43
	v_fma_f16 v35, v26, v36, -v45
	v_fmac_f16_e32 v32, v34, v36
	v_fma_f16 v34, v25, v37, -v46
	v_fmac_f16_e32 v33, v30, v37
	v_fma_f16 v36, v24, v38, -v47
	v_fma_f16 v37, v23, v39, -v48
	v_mul_f16_e32 v23, v9, v50
	v_fmac_f16_e32 v31, v21, v38
	v_mul_f16_e32 v21, v14, v49
	v_fmac_f16_e32 v29, v20, v39
	v_mul_f16_e32 v20, v12, v44
	v_mul_f16_e32 v26, v19, v49
	v_mul_f16_e32 v30, v10, v50
	v_mul_f16_e32 v38, v28, v51
	v_mul_f16_e32 v24, v11, v51
	v_fmac_f16_e32 v23, v10, v42
	v_add_f16_e32 v10, v34, v36
	v_mul_f16_e32 v25, v22, v44
	v_fmac_f16_e32 v21, v19, v41
	v_add_f16_e32 v19, v35, v37
	v_fmac_f16_e32 v20, v22, v40
	v_fma_f16 v22, v14, v41, -v26
	v_fma_f16 v26, v9, v42, -v30
	v_add_f16_e32 v9, v15, v35
	v_fma_f16 v30, v11, v43, -v38
	v_fmac_f16_e32 v24, v28, v43
	v_sub_f16_e32 v11, v32, v29
	v_sub_f16_e32 v14, v35, v34
	;; [unrolled: 1-line block ×3, first 2 shown]
	v_fma_f16 v10, -0.5, v10, v15
	v_fma_f16 v25, v12, v40, -v25
	v_sub_f16_e32 v12, v33, v31
	v_sub_f16_e32 v38, v34, v35
	;; [unrolled: 1-line block ×3, first 2 shown]
	v_fmac_f16_e32 v15, -0.5, v19
	v_add_f16_e32 v9, v9, v34
	v_add_f16_e32 v14, v14, v28
	v_fmamk_f16 v28, v11, 0x3b9c, v10
	v_add_f16_e32 v19, v38, v39
	v_fmamk_f16 v38, v12, 0xbb9c, v15
	v_fmac_f16_e32 v15, 0x3b9c, v12
	v_fmac_f16_e32 v10, 0xbb9c, v11
	v_add_f16_e32 v9, v9, v36
	v_fmac_f16_e32 v28, 0x38b4, v12
	v_fmac_f16_e32 v38, 0x38b4, v11
	;; [unrolled: 1-line block ×4, first 2 shown]
	v_add_f16_e32 v9, v9, v37
	v_fmac_f16_e32 v28, 0x34f2, v14
	v_fmac_f16_e32 v38, 0x34f2, v19
	;; [unrolled: 1-line block ×4, first 2 shown]
	ds_store_b16 v27, v9
	ds_store_b16 v27, v28 offset:10
	ds_store_b16 v27, v38 offset:20
	;; [unrolled: 1-line block ×4, first 2 shown]
	s_and_saveexec_b32 s1, s0
	s_cbranch_execz .LBB0_25
; %bb.24:
	v_add_f16_e32 v9, v25, v30
	v_add_f16_e32 v15, v22, v26
	v_mul_lo_u16 v28, 0xcd, v18
	v_sub_f16_e32 v10, v22, v25
	v_sub_f16_e32 v11, v26, v30
	v_fma_f16 v9, -0.5, v9, v6
	v_fma_f16 v15, -0.5, v15, v6
	v_add_f16_e32 v6, v6, v25
	v_lshrrev_b16 v28, 10, v28
	v_sub_f16_e32 v14, v20, v24
	v_sub_f16_e32 v12, v21, v23
	;; [unrolled: 1-line block ×3, first 2 shown]
	v_add_f16_e32 v6, v6, v22
	v_and_b32_e32 v28, 0xffff, v28
	v_sub_f16_e32 v38, v30, v26
	v_add_f16_e32 v10, v10, v11
	v_fmamk_f16 v11, v14, 0xbb9c, v15
	v_fmac_f16_e32 v15, 0x3b9c, v14
	v_fmamk_f16 v39, v12, 0x3b9c, v9
	v_fmac_f16_e32 v9, 0xbb9c, v12
	v_add_f16_e32 v6, v6, v26
	v_mul_u32_u24_e32 v28, 50, v28
	v_add_f16_e32 v19, v19, v38
	v_fmac_f16_e32 v15, 0x38b4, v12
	v_fmac_f16_e32 v9, 0x38b4, v14
	;; [unrolled: 1-line block ×4, first 2 shown]
	v_add_f16_e32 v6, v6, v30
	v_add3_u32 v12, 0, v28, v17
	v_fmac_f16_e32 v15, 0x34f2, v19
	v_fmac_f16_e32 v9, 0x34f2, v10
	;; [unrolled: 1-line block ×4, first 2 shown]
	ds_store_b16 v12, v6
	ds_store_b16 v12, v15 offset:10
	ds_store_b16 v12, v9 offset:20
	;; [unrolled: 1-line block ×4, first 2 shown]
.LBB0_25:
	s_wait_alu 0xfffe
	s_or_b32 exec_lo, exec_lo, s1
	v_add_f16_e32 v6, v33, v31
	v_add_f16_e32 v9, v16, v32
	v_sub_f16_e32 v28, v35, v37
	v_add_f16_e32 v10, v32, v29
	v_sub_f16_e32 v34, v34, v36
	v_fma_f16 v35, -0.5, v6, v16
	v_add_f16_e32 v6, v9, v33
	v_sub_f16_e32 v36, v32, v33
	v_fmac_f16_e32 v16, -0.5, v10
	v_sub_f16_e32 v32, v33, v32
	global_wb scope:SCOPE_SE
	s_wait_dscnt 0x0
	v_add_f16_e32 v33, v6, v31
	s_barrier_signal -1
	s_barrier_wait -1
	global_inv scope:SCOPE_SE
	v_lshl_add_u32 v6, v8, 1, 0
	ds_load_u16 v15, v0 offset:700
	ds_load_u16 v12, v0 offset:1050
	;; [unrolled: 1-line block ×5, first 2 shown]
	ds_load_u16 v9, v0
	ds_load_u16 v19, v6 offset:350
	v_sub_f16_e32 v37, v29, v31
	v_fmamk_f16 v38, v28, 0xbb9c, v35
	v_fmamk_f16 v39, v34, 0x3b9c, v16
	v_sub_f16_e32 v31, v31, v29
	v_fmac_f16_e32 v16, 0xbb9c, v34
	v_fmac_f16_e32 v35, 0x3b9c, v28
	;; [unrolled: 1-line block ×3, first 2 shown]
	v_add_f16_e32 v36, v36, v37
	v_fmac_f16_e32 v39, 0xb8b4, v28
	v_add_f16_e32 v31, v32, v31
	v_fmac_f16_e32 v16, 0x38b4, v28
	v_fmac_f16_e32 v35, 0x38b4, v34
	v_add_f16_e32 v28, v33, v29
	v_fmac_f16_e32 v38, 0x34f2, v36
	v_fmac_f16_e32 v39, 0x34f2, v31
	v_fmac_f16_e32 v16, 0x34f2, v31
	v_fmac_f16_e32 v35, 0x34f2, v36
	global_wb scope:SCOPE_SE
	s_wait_dscnt 0x0
	s_barrier_signal -1
	s_barrier_wait -1
	global_inv scope:SCOPE_SE
	ds_store_b16 v27, v28
	ds_store_b16 v27, v38 offset:10
	ds_store_b16 v27, v39 offset:20
	;; [unrolled: 1-line block ×4, first 2 shown]
	s_and_saveexec_b32 s1, s0
	s_cbranch_execz .LBB0_27
; %bb.26:
	v_mul_lo_u16 v18, 0xcd, v18
	v_add_f16_e32 v27, v21, v23
	v_add_f16_e32 v28, v20, v24
	;; [unrolled: 1-line block ×3, first 2 shown]
	v_sub_f16_e32 v25, v25, v30
	v_lshrrev_b16 v18, 10, v18
	v_sub_f16_e32 v22, v22, v26
	v_fma_f16 v26, -0.5, v27, v7
	v_fmac_f16_e32 v7, -0.5, v28
	v_add_f16_e32 v16, v16, v21
	v_and_b32_e32 v18, 0xffff, v18
	v_sub_f16_e32 v27, v20, v21
	v_fmamk_f16 v29, v25, 0xbb9c, v26
	v_sub_f16_e32 v30, v24, v23
	v_fmamk_f16 v28, v22, 0x3b9c, v7
	v_sub_f16_e32 v20, v21, v20
	v_sub_f16_e32 v21, v23, v24
	v_fmac_f16_e32 v7, 0xbb9c, v22
	v_fmac_f16_e32 v26, 0x3b9c, v25
	v_add_f16_e32 v16, v16, v23
	v_mul_u32_u24_e32 v18, 50, v18
	v_fmac_f16_e32 v29, 0xb8b4, v22
	v_add_f16_e32 v27, v27, v30
	v_fmac_f16_e32 v28, 0xb8b4, v25
	v_add_f16_e32 v20, v20, v21
	v_fmac_f16_e32 v7, 0x38b4, v25
	v_fmac_f16_e32 v26, 0x38b4, v22
	v_add_f16_e32 v16, v16, v24
	v_add3_u32 v17, 0, v18, v17
	v_fmac_f16_e32 v29, 0x34f2, v27
	v_fmac_f16_e32 v28, 0x34f2, v20
	;; [unrolled: 1-line block ×4, first 2 shown]
	ds_store_b16 v17, v16
	ds_store_b16 v17, v29 offset:10
	ds_store_b16 v17, v28 offset:20
	;; [unrolled: 1-line block ×4, first 2 shown]
.LBB0_27:
	s_wait_alu 0xfffe
	s_or_b32 exec_lo, exec_lo, s1
	v_mul_lo_u16 v7, v13, 41
	global_wb scope:SCOPE_SE
	s_wait_dscnt 0x0
	s_barrier_signal -1
	s_barrier_wait -1
	global_inv scope:SCOPE_SE
	v_lshrrev_b16 v7, 10, v7
	s_delay_alu instid0(VALU_DEP_1) | instskip(SKIP_1) | instid1(VALU_DEP_2)
	v_mul_lo_u16 v13, v7, 25
	v_and_b32_e32 v7, 0xffff, v7
	v_sub_nc_u16 v13, v8, v13
	s_delay_alu instid0(VALU_DEP_2) | instskip(NEXT) | instid1(VALU_DEP_2)
	v_mul_u32_u24_e32 v7, 0x15e, v7
	v_and_b32_e32 v13, 0xff, v13
	s_delay_alu instid0(VALU_DEP_1) | instskip(SKIP_1) | instid1(VALU_DEP_2)
	v_mul_u32_u24_e32 v16, 6, v13
	v_lshlrev_b32_e32 v13, 1, v13
	v_lshlrev_b32_e32 v16, 2, v16
	s_delay_alu instid0(VALU_DEP_2)
	v_add3_u32 v30, 0, v7, v13
	s_clause 0x1
	global_load_b128 v[20:23], v16, s[8:9] offset:80
	global_load_b64 v[16:17], v16, s[8:9] offset:96
	ds_load_u16 v18, v6 offset:350
	ds_load_u16 v24, v0 offset:700
	;; [unrolled: 1-line block ×3, first 2 shown]
	ds_load_u16 v26, v0
	ds_load_u16 v27, v0 offset:1400
	ds_load_u16 v28, v0 offset:1750
	;; [unrolled: 1-line block ×3, first 2 shown]
	global_wb scope:SCOPE_SE
	s_wait_loadcnt_dscnt 0x0
	s_barrier_signal -1
	s_barrier_wait -1
	global_inv scope:SCOPE_SE
	v_lshrrev_b32_e32 v7, 16, v20
	v_lshrrev_b32_e32 v13, 16, v21
	;; [unrolled: 1-line block ×6, first 2 shown]
	v_mul_f16_e32 v35, v18, v7
	v_mul_f16_e32 v36, v24, v13
	;; [unrolled: 1-line block ×12, first 2 shown]
	v_fma_f16 v19, v19, v20, -v35
	v_fma_f16 v15, v15, v21, -v36
	;; [unrolled: 1-line block ×4, first 2 shown]
	v_fmac_f16_e32 v7, v18, v20
	v_fmac_f16_e32 v13, v24, v21
	v_fma_f16 v12, v12, v22, -v37
	v_fmac_f16_e32 v31, v25, v22
	v_fma_f16 v11, v11, v23, -v38
	v_fmac_f16_e32 v34, v29, v17
	v_fmac_f16_e32 v32, v27, v23
	;; [unrolled: 1-line block ×3, first 2 shown]
	v_add_f16_e32 v16, v19, v14
	v_add_f16_e32 v18, v15, v10
	v_add_f16_e32 v17, v7, v34
	v_sub_f16_e32 v14, v19, v14
	v_sub_f16_e32 v7, v7, v34
	v_add_f16_e32 v19, v13, v33
	v_sub_f16_e32 v10, v15, v10
	v_sub_f16_e32 v13, v13, v33
	v_add_f16_e32 v15, v12, v11
	v_add_f16_e32 v20, v31, v32
	v_sub_f16_e32 v11, v11, v12
	v_sub_f16_e32 v12, v32, v31
	v_add_f16_e32 v21, v18, v16
	v_add_f16_e32 v22, v19, v17
	v_sub_f16_e32 v23, v18, v16
	v_sub_f16_e32 v24, v19, v17
	;; [unrolled: 1-line block ×6, first 2 shown]
	v_add_f16_e32 v25, v11, v10
	v_add_f16_e32 v27, v12, v13
	v_sub_f16_e32 v28, v11, v10
	v_sub_f16_e32 v29, v12, v13
	;; [unrolled: 1-line block ×4, first 2 shown]
	v_add_f16_e32 v15, v15, v21
	v_sub_f16_e32 v11, v14, v11
	v_sub_f16_e32 v12, v7, v12
	v_add_f16_e32 v20, v20, v22
	v_add_f16_e32 v14, v25, v14
	;; [unrolled: 1-line block ×3, first 2 shown]
	v_mul_f16_e32 v16, 0x3a52, v16
	v_mul_f16_e32 v17, 0x3a52, v17
	;; [unrolled: 1-line block ×8, first 2 shown]
	v_add_f16_e32 v9, v9, v15
	v_add_f16_e32 v26, v26, v20
	v_fmamk_f16 v18, v18, 0x2b26, v16
	v_fmamk_f16 v19, v19, 0x2b26, v17
	v_fma_f16 v21, v23, 0x39e0, -v21
	v_fma_f16 v22, v24, 0x39e0, -v22
	;; [unrolled: 1-line block ×4, first 2 shown]
	v_fmamk_f16 v23, v11, 0x3574, v25
	v_fmamk_f16 v24, v12, 0x3574, v27
	v_fma_f16 v25, v10, 0x3b00, -v25
	v_fma_f16 v10, v13, 0x3b00, -v27
	;; [unrolled: 1-line block ×4, first 2 shown]
	v_fmamk_f16 v12, v15, 0xbcab, v9
	v_fmamk_f16 v13, v20, 0xbcab, v26
	v_fmac_f16_e32 v24, 0x370e, v7
	v_fmac_f16_e32 v10, 0x370e, v7
	v_fmac_f16_e32 v11, 0x370e, v7
	v_add_f16_e32 v7, v18, v12
	v_fmac_f16_e32 v23, 0x370e, v14
	v_fmac_f16_e32 v25, 0x370e, v14
	;; [unrolled: 1-line block ×3, first 2 shown]
	v_add_f16_e32 v14, v21, v12
	v_add_f16_e32 v12, v16, v12
	;; [unrolled: 1-line block ×7, first 2 shown]
	v_sub_f16_e32 v21, v14, v10
	v_add_f16_e32 v10, v10, v14
	v_sub_f16_e32 v11, v12, v11
	v_sub_f16_e32 v7, v7, v24
	ds_store_b16 v30, v9
	ds_store_b16 v30, v13 offset:50
	ds_store_b16 v30, v19 offset:100
	;; [unrolled: 1-line block ×6, first 2 shown]
	global_wb scope:SCOPE_SE
	s_wait_dscnt 0x0
	s_barrier_signal -1
	s_barrier_wait -1
	global_inv scope:SCOPE_SE
	ds_load_u16 v9, v0 offset:700
	ds_load_u16 v10, v0 offset:1050
	;; [unrolled: 1-line block ×5, first 2 shown]
	ds_load_u16 v7, v0
	ds_load_u16 v14, v6 offset:350
	v_sub_f16_e32 v18, v15, v23
	v_sub_f16_e32 v20, v16, v27
	v_add_f16_e32 v19, v25, v17
	v_sub_f16_e32 v17, v17, v25
	v_add_f16_e32 v16, v27, v16
	v_add_f16_e32 v15, v23, v15
	global_wb scope:SCOPE_SE
	s_wait_dscnt 0x0
	s_barrier_signal -1
	s_barrier_wait -1
	global_inv scope:SCOPE_SE
	ds_store_b16 v30, v26
	ds_store_b16 v30, v18 offset:50
	ds_store_b16 v30, v20 offset:100
	;; [unrolled: 1-line block ×6, first 2 shown]
	global_wb scope:SCOPE_SE
	s_wait_dscnt 0x0
	s_barrier_signal -1
	s_barrier_wait -1
	global_inv scope:SCOPE_SE
	s_and_saveexec_b32 s0, vcc_lo
	s_cbranch_execz .LBB0_29
; %bb.28:
	v_mul_u32_u24_e32 v8, 6, v8
	v_mul_lo_u32 v21, s2, v4
	v_lshlrev_b64_e32 v[1:2], 2, v[1:2]
	s_delay_alu instid0(VALU_DEP_3)
	v_lshlrev_b32_e32 v8, 2, v8
	s_clause 0x1
	global_load_b128 v[15:18], v8, s[8:9] offset:680
	global_load_b64 v[19:20], v8, s[8:9] offset:696
	v_mul_lo_u32 v8, s3, v3
	v_mad_co_u64_u32 v[3:4], null, s2, v3, 0
	s_delay_alu instid0(VALU_DEP_1)
	v_add3_u32 v4, v4, v21, v8
	ds_load_u16 v8, v6 offset:350
	ds_load_u16 v21, v0 offset:2100
	;; [unrolled: 1-line block ×6, first 2 shown]
	v_mov_b32_e32 v6, 0
	v_lshlrev_b64_e32 v[3:4], 2, v[3:4]
	s_delay_alu instid0(VALU_DEP_1) | instskip(SKIP_1) | instid1(VALU_DEP_2)
	v_add_co_u32 v26, vcc_lo, s6, v3
	s_wait_alu 0xfffd
	v_add_co_ci_u32_e32 v27, vcc_lo, s7, v4, vcc_lo
	v_lshlrev_b64_e32 v[3:4], 2, v[5:6]
	s_delay_alu instid0(VALU_DEP_3) | instskip(SKIP_1) | instid1(VALU_DEP_3)
	v_add_co_u32 v1, vcc_lo, v26, v1
	s_wait_alu 0xfffd
	v_add_co_ci_u32_e32 v2, vcc_lo, v27, v2, vcc_lo
	ds_load_u16 v5, v0
	v_add_co_u32 v0, vcc_lo, v1, v3
	s_wait_alu 0xfffd
	v_add_co_ci_u32_e32 v1, vcc_lo, v2, v4, vcc_lo
	s_wait_loadcnt 0x1
	v_lshrrev_b32_e32 v2, 16, v15
	v_lshrrev_b32_e32 v3, 16, v16
	s_wait_loadcnt 0x0
	v_lshrrev_b32_e32 v4, 16, v20
	v_lshrrev_b32_e32 v6, 16, v18
	;; [unrolled: 1-line block ×4, first 2 shown]
	s_wait_dscnt 0x6
	v_mul_f16_e32 v28, v8, v2
	s_wait_dscnt 0x5
	v_mul_f16_e32 v29, v21, v4
	;; [unrolled: 2-line block ×5, first 2 shown]
	v_mul_f16_e32 v33, v22, v27
	v_mul_f16_e32 v4, v13, v4
	;; [unrolled: 1-line block ×7, first 2 shown]
	v_fma_f16 v14, v14, v15, -v28
	v_fma_f16 v13, v13, v20, -v29
	;; [unrolled: 1-line block ×6, first 2 shown]
	v_fmac_f16_e32 v4, v20, v21
	v_fmac_f16_e32 v2, v15, v8
	;; [unrolled: 1-line block ×6, first 2 shown]
	v_sub_f16_e32 v8, v14, v13
	v_sub_f16_e32 v15, v12, v10
	v_sub_f16_e32 v16, v9, v11
	v_add_f16_e32 v17, v2, v4
	v_add_f16_e32 v18, v6, v26
	;; [unrolled: 1-line block ×6, first 2 shown]
	v_sub_f16_e32 v2, v2, v4
	v_sub_f16_e32 v4, v6, v26
	;; [unrolled: 1-line block ×5, first 2 shown]
	v_add_f16_e32 v12, v15, v16
	v_sub_f16_e32 v15, v18, v19
	v_add_f16_e32 v20, v17, v19
	v_add_f16_e32 v23, v13, v9
	v_sub_f16_e32 v14, v17, v18
	v_sub_f16_e32 v21, v13, v10
	;; [unrolled: 1-line block ×5, first 2 shown]
	v_add_f16_e32 v4, v4, v3
	v_sub_f16_e32 v16, v16, v8
	v_sub_f16_e32 v9, v9, v13
	;; [unrolled: 1-line block ×3, first 2 shown]
	v_mul_f16_e32 v13, 0x2b26, v15
	v_add_f16_e32 v15, v18, v20
	v_add_f16_e32 v10, v10, v23
	v_sub_f16_e32 v17, v19, v17
	v_mul_f16_e32 v11, 0xb846, v11
	v_add_f16_e32 v8, v8, v12
	v_mul_f16_e32 v12, 0x3a52, v14
	v_mul_f16_e32 v18, 0x3a52, v21
	;; [unrolled: 1-line block ×4, first 2 shown]
	v_add_f16_e32 v2, v2, v4
	v_mul_f16_e32 v4, 0x3b00, v16
	v_mul_f16_e32 v22, 0x3b00, v3
	s_wait_dscnt 0x0
	v_add_f16_e32 v5, v5, v15
	v_add_f16_e32 v7, v7, v10
	v_fmamk_f16 v23, v6, 0x3574, v11
	v_fmamk_f16 v14, v14, 0x3a52, v13
	;; [unrolled: 1-line block ×4, first 2 shown]
	v_fma_f16 v4, v6, 0xb574, -v4
	v_fma_f16 v6, v17, 0xb9e0, -v12
	;; [unrolled: 1-line block ×5, first 2 shown]
	v_fmamk_f16 v15, v15, 0xbcab, v5
	v_fmamk_f16 v10, v10, 0xbcab, v7
	v_fma_f16 v11, v16, 0x3b00, -v11
	v_fma_f16 v13, v17, 0x39e0, -v13
	;; [unrolled: 1-line block ×3, first 2 shown]
	v_fmac_f16_e32 v23, 0x370e, v8
	v_fmac_f16_e32 v25, 0x370e, v2
	v_fmac_f16_e32 v4, 0x370e, v8
	v_fmac_f16_e32 v18, 0x370e, v2
	v_fmac_f16_e32 v3, 0x370e, v2
	v_pack_b32_f16 v2, v7, v5
	v_add_f16_e32 v5, v14, v15
	v_add_f16_e32 v7, v21, v10
	;; [unrolled: 1-line block ×3, first 2 shown]
	v_fmac_f16_e32 v11, 0x370e, v8
	v_add_f16_e32 v8, v12, v10
	v_add_f16_e32 v12, v13, v15
	;; [unrolled: 1-line block ×5, first 2 shown]
	v_sub_f16_e32 v4, v6, v4
	v_sub_f16_e32 v5, v5, v23
	v_add_f16_e32 v6, v25, v7
	v_sub_f16_e32 v13, v7, v25
	v_add_f16_e32 v7, v18, v8
	;; [unrolled: 2-line block ×4, first 2 shown]
	v_sub_f16_e32 v8, v8, v18
	v_pack_b32_f16 v5, v6, v5
	v_pack_b32_f16 v4, v7, v4
	v_pack_b32_f16 v6, v12, v11
	v_pack_b32_f16 v3, v3, v15
	v_pack_b32_f16 v7, v8, v14
	v_pack_b32_f16 v8, v13, v10
	s_clause 0x6
	global_store_b32 v[0:1], v2, off
	global_store_b32 v[0:1], v5, off offset:700
	global_store_b32 v[0:1], v4, off offset:1400
	;; [unrolled: 1-line block ×6, first 2 shown]
.LBB0_29:
	s_nop 0
	s_sendmsg sendmsg(MSG_DEALLOC_VGPRS)
	s_endpgm
	.section	.rodata,"a",@progbits
	.p2align	6, 0x0
	.amdhsa_kernel fft_rtc_fwd_len1225_factors_5_5_7_7_wgs_175_tpt_175_halfLds_half_op_CI_CI_unitstride_sbrr_dirReg
		.amdhsa_group_segment_fixed_size 0
		.amdhsa_private_segment_fixed_size 0
		.amdhsa_kernarg_size 104
		.amdhsa_user_sgpr_count 2
		.amdhsa_user_sgpr_dispatch_ptr 0
		.amdhsa_user_sgpr_queue_ptr 0
		.amdhsa_user_sgpr_kernarg_segment_ptr 1
		.amdhsa_user_sgpr_dispatch_id 0
		.amdhsa_user_sgpr_private_segment_size 0
		.amdhsa_wavefront_size32 1
		.amdhsa_uses_dynamic_stack 0
		.amdhsa_enable_private_segment 0
		.amdhsa_system_sgpr_workgroup_id_x 1
		.amdhsa_system_sgpr_workgroup_id_y 0
		.amdhsa_system_sgpr_workgroup_id_z 0
		.amdhsa_system_sgpr_workgroup_info 0
		.amdhsa_system_vgpr_workitem_id 0
		.amdhsa_next_free_vgpr 52
		.amdhsa_next_free_sgpr 39
		.amdhsa_reserve_vcc 1
		.amdhsa_float_round_mode_32 0
		.amdhsa_float_round_mode_16_64 0
		.amdhsa_float_denorm_mode_32 3
		.amdhsa_float_denorm_mode_16_64 3
		.amdhsa_fp16_overflow 0
		.amdhsa_workgroup_processor_mode 1
		.amdhsa_memory_ordered 1
		.amdhsa_forward_progress 0
		.amdhsa_round_robin_scheduling 0
		.amdhsa_exception_fp_ieee_invalid_op 0
		.amdhsa_exception_fp_denorm_src 0
		.amdhsa_exception_fp_ieee_div_zero 0
		.amdhsa_exception_fp_ieee_overflow 0
		.amdhsa_exception_fp_ieee_underflow 0
		.amdhsa_exception_fp_ieee_inexact 0
		.amdhsa_exception_int_div_zero 0
	.end_amdhsa_kernel
	.text
.Lfunc_end0:
	.size	fft_rtc_fwd_len1225_factors_5_5_7_7_wgs_175_tpt_175_halfLds_half_op_CI_CI_unitstride_sbrr_dirReg, .Lfunc_end0-fft_rtc_fwd_len1225_factors_5_5_7_7_wgs_175_tpt_175_halfLds_half_op_CI_CI_unitstride_sbrr_dirReg
                                        ; -- End function
	.section	.AMDGPU.csdata,"",@progbits
; Kernel info:
; codeLenInByte = 6548
; NumSgprs: 41
; NumVgprs: 52
; ScratchSize: 0
; MemoryBound: 0
; FloatMode: 240
; IeeeMode: 1
; LDSByteSize: 0 bytes/workgroup (compile time only)
; SGPRBlocks: 5
; VGPRBlocks: 6
; NumSGPRsForWavesPerEU: 41
; NumVGPRsForWavesPerEU: 52
; Occupancy: 15
; WaveLimiterHint : 1
; COMPUTE_PGM_RSRC2:SCRATCH_EN: 0
; COMPUTE_PGM_RSRC2:USER_SGPR: 2
; COMPUTE_PGM_RSRC2:TRAP_HANDLER: 0
; COMPUTE_PGM_RSRC2:TGID_X_EN: 1
; COMPUTE_PGM_RSRC2:TGID_Y_EN: 0
; COMPUTE_PGM_RSRC2:TGID_Z_EN: 0
; COMPUTE_PGM_RSRC2:TIDIG_COMP_CNT: 0
	.text
	.p2alignl 7, 3214868480
	.fill 96, 4, 3214868480
	.type	__hip_cuid_f12d226ec8b0b49f,@object ; @__hip_cuid_f12d226ec8b0b49f
	.section	.bss,"aw",@nobits
	.globl	__hip_cuid_f12d226ec8b0b49f
__hip_cuid_f12d226ec8b0b49f:
	.byte	0                               ; 0x0
	.size	__hip_cuid_f12d226ec8b0b49f, 1

	.ident	"AMD clang version 19.0.0git (https://github.com/RadeonOpenCompute/llvm-project roc-6.4.0 25133 c7fe45cf4b819c5991fe208aaa96edf142730f1d)"
	.section	".note.GNU-stack","",@progbits
	.addrsig
	.addrsig_sym __hip_cuid_f12d226ec8b0b49f
	.amdgpu_metadata
---
amdhsa.kernels:
  - .args:
      - .actual_access:  read_only
        .address_space:  global
        .offset:         0
        .size:           8
        .value_kind:     global_buffer
      - .offset:         8
        .size:           8
        .value_kind:     by_value
      - .actual_access:  read_only
        .address_space:  global
        .offset:         16
        .size:           8
        .value_kind:     global_buffer
      - .actual_access:  read_only
        .address_space:  global
        .offset:         24
        .size:           8
        .value_kind:     global_buffer
      - .actual_access:  read_only
        .address_space:  global
        .offset:         32
        .size:           8
        .value_kind:     global_buffer
      - .offset:         40
        .size:           8
        .value_kind:     by_value
      - .actual_access:  read_only
        .address_space:  global
        .offset:         48
        .size:           8
        .value_kind:     global_buffer
      - .actual_access:  read_only
        .address_space:  global
        .offset:         56
        .size:           8
        .value_kind:     global_buffer
      - .offset:         64
        .size:           4
        .value_kind:     by_value
      - .actual_access:  read_only
        .address_space:  global
        .offset:         72
        .size:           8
        .value_kind:     global_buffer
      - .actual_access:  read_only
        .address_space:  global
        .offset:         80
        .size:           8
        .value_kind:     global_buffer
      - .actual_access:  read_only
        .address_space:  global
        .offset:         88
        .size:           8
        .value_kind:     global_buffer
      - .actual_access:  write_only
        .address_space:  global
        .offset:         96
        .size:           8
        .value_kind:     global_buffer
    .group_segment_fixed_size: 0
    .kernarg_segment_align: 8
    .kernarg_segment_size: 104
    .language:       OpenCL C
    .language_version:
      - 2
      - 0
    .max_flat_workgroup_size: 175
    .name:           fft_rtc_fwd_len1225_factors_5_5_7_7_wgs_175_tpt_175_halfLds_half_op_CI_CI_unitstride_sbrr_dirReg
    .private_segment_fixed_size: 0
    .sgpr_count:     41
    .sgpr_spill_count: 0
    .symbol:         fft_rtc_fwd_len1225_factors_5_5_7_7_wgs_175_tpt_175_halfLds_half_op_CI_CI_unitstride_sbrr_dirReg.kd
    .uniform_work_group_size: 1
    .uses_dynamic_stack: false
    .vgpr_count:     52
    .vgpr_spill_count: 0
    .wavefront_size: 32
    .workgroup_processor_mode: 1
amdhsa.target:   amdgcn-amd-amdhsa--gfx1201
amdhsa.version:
  - 1
  - 2
...

	.end_amdgpu_metadata
